;; amdgpu-corpus repo=ROCm/rocFFT kind=compiled arch=gfx1201 opt=O3
	.text
	.amdgcn_target "amdgcn-amd-amdhsa--gfx1201"
	.amdhsa_code_object_version 6
	.protected	fft_rtc_fwd_len17_factors_17_wgs_120_tpt_1_half_op_CI_CI_sbrc_xy_z_aligned_dirReg ; -- Begin function fft_rtc_fwd_len17_factors_17_wgs_120_tpt_1_half_op_CI_CI_sbrc_xy_z_aligned_dirReg
	.globl	fft_rtc_fwd_len17_factors_17_wgs_120_tpt_1_half_op_CI_CI_sbrc_xy_z_aligned_dirReg
	.p2align	8
	.type	fft_rtc_fwd_len17_factors_17_wgs_120_tpt_1_half_op_CI_CI_sbrc_xy_z_aligned_dirReg,@function
fft_rtc_fwd_len17_factors_17_wgs_120_tpt_1_half_op_CI_CI_sbrc_xy_z_aligned_dirReg: ; @fft_rtc_fwd_len17_factors_17_wgs_120_tpt_1_half_op_CI_CI_sbrc_xy_z_aligned_dirReg
; %bb.0:
	s_clause 0x1
	s_load_b128 s[16:19], s[0:1], 0x10
	s_load_b64 s[24:25], s[0:1], 0x20
	s_mov_b32 s2, ttmp9
	s_mov_b64 s[28:29], 0
	s_wait_kmcnt 0x0
	s_load_b128 s[20:23], s[16:17], 0x8
	s_clause 0x1
	s_load_b128 s[12:15], s[18:19], 0x0
	s_load_b64 s[26:27], s[18:19], 0x10
	s_wait_kmcnt 0x0
	s_add_co_i32 s3, s22, -1
	s_delay_alu instid0(SALU_CYCLE_1) | instskip(NEXT) | instid1(SALU_CYCLE_1)
	s_mul_hi_u32 s3, s3, 0x88888889
	s_lshr_b32 s3, s3, 6
	s_delay_alu instid0(SALU_CYCLE_1) | instskip(NEXT) | instid1(SALU_CYCLE_1)
	s_add_co_i32 s3, s3, 1
	s_mul_i32 s8, s3, s20
	s_delay_alu instid0(SALU_CYCLE_1) | instskip(SKIP_1) | instid1(SALU_CYCLE_2)
	s_cvt_f32_u32 s3, s8
	s_sub_co_i32 s4, 0, s8
	v_rcp_iflag_f32_e32 v1, s3
	s_delay_alu instid0(TRANS32_DEP_1) | instskip(SKIP_1) | instid1(VALU_DEP_2)
	v_readfirstlane_b32 s3, v1
	v_cvt_f32_u32_e32 v1, s20
	s_mul_f32 s3, s3, 0x4f7ffffe
	s_wait_alu 0xfffe
	s_delay_alu instid0(SALU_CYCLE_2) | instskip(SKIP_1) | instid1(SALU_CYCLE_2)
	s_cvt_u32_f32 s3, s3
	s_wait_alu 0xfffe
	s_mul_i32 s4, s4, s3
	s_delay_alu instid0(SALU_CYCLE_1) | instskip(NEXT) | instid1(SALU_CYCLE_1)
	s_mul_hi_u32 s4, s3, s4
	s_add_co_i32 s3, s3, s4
	s_wait_alu 0xfffe
	s_mul_hi_u32 s3, ttmp9, s3
	s_wait_alu 0xfffe
	s_mul_i32 s4, s3, s8
	s_add_co_i32 s10, s3, 1
	s_sub_co_i32 s9, ttmp9, s4
	s_clause 0x1
	s_load_b128 s[4:7], s[24:25], 0x0
	s_load_b64 s[22:23], s[24:25], 0x10
	s_sub_co_i32 s11, s9, s8
	s_cmp_ge_u32 s9, s8
	s_cselect_b32 s3, s10, s3
	s_wait_kmcnt 0x0
	s_cselect_b32 s7, s11, s9
	s_wait_alu 0xfffe
	s_add_co_i32 s9, s3, 1
	s_cmp_ge_u32 s7, s8
	s_cselect_b32 s16, s9, s3
	s_mov_b32 s3, 0
	s_mul_i32 s7, s16, s8
	s_wait_alu 0xfffe
	s_mov_b32 s9, s3
	s_sub_co_i32 s8, ttmp9, s7
	s_delay_alu instid0(SALU_CYCLE_1) | instskip(NEXT) | instid1(VALU_DEP_1)
	v_cmp_lt_u64_e64 s7, s[8:9], s[20:21]
	s_and_b32 vcc_lo, exec_lo, s7
	s_cbranch_vccnz .LBB0_2
; %bb.1:
	v_rcp_iflag_f32_e32 v2, v1
	s_sub_co_i32 s9, 0, s20
	s_delay_alu instid0(TRANS32_DEP_1) | instskip(NEXT) | instid1(VALU_DEP_1)
	v_mul_f32_e32 v2, 0x4f7ffffe, v2
	v_cvt_u32_f32_e32 v2, v2
	s_delay_alu instid0(VALU_DEP_1) | instskip(SKIP_1) | instid1(VALU_DEP_1)
	v_readfirstlane_b32 s7, v2
	s_wait_alu 0xfffe
	s_mul_i32 s9, s9, s7
	s_wait_alu 0xfffe
	s_mul_hi_u32 s9, s7, s9
	s_wait_alu 0xfffe
	s_add_co_i32 s7, s7, s9
	s_delay_alu instid0(SALU_CYCLE_1) | instskip(NEXT) | instid1(SALU_CYCLE_1)
	s_mul_hi_u32 s7, s8, s7
	s_mul_i32 s9, s7, s20
	s_wait_alu 0xfffe
	s_sub_co_i32 s8, s8, s9
	s_add_co_i32 s9, s7, 1
	s_wait_alu 0xfffe
	s_sub_co_i32 s10, s8, s20
	s_cmp_ge_u32 s8, s20
	s_cselect_b32 s7, s9, s7
	s_cselect_b32 s8, s10, s8
	s_add_co_i32 s9, s7, 1
	s_wait_alu 0xfffe
	s_cmp_ge_u32 s8, s20
	s_cselect_b32 s28, s9, s7
.LBB0_2:
	s_load_b128 s[8:11], s[0:1], 0x58
	v_cmp_lt_u64_e64 s3, s[2:3], s[20:21]
	s_delay_alu instid0(VALU_DEP_1)
	s_and_b32 vcc_lo, exec_lo, s3
	s_cbranch_vccnz .LBB0_4
; %bb.3:
	v_rcp_iflag_f32_e32 v1, v1
	s_sub_co_i32 s7, 0, s20
	s_delay_alu instid0(TRANS32_DEP_1) | instskip(NEXT) | instid1(VALU_DEP_1)
	v_mul_f32_e32 v1, 0x4f7ffffe, v1
	v_cvt_u32_f32_e32 v1, v1
	s_delay_alu instid0(VALU_DEP_1) | instskip(NEXT) | instid1(VALU_DEP_1)
	v_readfirstlane_b32 s3, v1
	s_mul_i32 s7, s7, s3
	s_delay_alu instid0(SALU_CYCLE_1) | instskip(NEXT) | instid1(SALU_CYCLE_1)
	s_mul_hi_u32 s7, s3, s7
	s_add_co_i32 s3, s3, s7
	s_wait_alu 0xfffe
	s_mul_hi_u32 s3, s2, s3
	s_wait_alu 0xfffe
	s_mul_i32 s3, s3, s20
	s_wait_alu 0xfffe
	s_sub_co_i32 s2, s2, s3
	s_wait_alu 0xfffe
	s_sub_co_i32 s3, s2, s20
	s_cmp_ge_u32 s2, s20
	s_wait_alu 0xfffe
	s_cselect_b32 s2, s3, s2
	s_wait_alu 0xfffe
	s_sub_co_i32 s3, s2, s20
	s_cmp_ge_u32 s2, s20
	s_wait_alu 0xfffe
	s_cselect_b32 s2, s3, s2
.LBB0_4:
	v_mul_u32_u24_e32 v1, 0xf10, v0
	v_add_nc_u16 v7, v0, 0xf0
	s_load_b64 s[20:21], s[0:1], 0x8
	s_mul_i32 s0, s2, s14
	v_add_nc_u16 v20, v0, 0x168
	v_lshrrev_b32_e32 v3, 16, v1
	v_add_nc_u16 v1, v0, 0x78
	v_and_b32_e32 v6, 0xffff, v7
	s_mov_b32 s1, 0
	v_dual_mov_b32 v2, 0 :: v_dual_and_b32 v13, 0xffff, v20
	s_delay_alu instid0(VALU_DEP_3) | instskip(NEXT) | instid1(VALU_DEP_3)
	v_and_b32_e32 v5, 0xffff, v1
	v_mul_u32_u24_e32 v8, 0xf10, v6
	v_mul_lo_u16 v4, v3, 17
	s_delay_alu instid0(VALU_DEP_4)
	v_mul_u32_u24_e32 v19, 0xf10, v13
	s_mul_i32 s7, s28, 0x78
	v_mul_u32_u24_e32 v5, 0xf10, v5
	s_mov_b32 s17, s1
	v_sub_nc_u16 v4, v0, v4
	s_mul_i32 s3, s7, s26
	v_add_nc_u16 v26, v0, 0x258
	v_lshrrev_b32_e32 v6, 16, v5
	v_lshrrev_b32_e32 v5, 16, v8
	v_and_b32_e32 v11, 0xffff, v4
	s_wait_kmcnt 0x0
	s_lshl_b64 s[14:15], s[20:21], 3
	s_wait_alu 0xfffe
	s_add_co_i32 s0, s0, s3
	v_mul_lo_u16 v8, v6, 17
	v_mul_lo_u16 v12, v5, 17
	s_add_nc_u64 s[18:19], s[18:19], s[14:15]
	v_mad_co_u64_u32 v[9:10], null, s12, v11, 0
	s_delay_alu instid0(VALU_DEP_3) | instskip(NEXT) | instid1(VALU_DEP_3)
	v_sub_nc_u16 v8, v1, v8
	v_sub_nc_u16 v7, v7, v12
	s_load_b64 s[18:19], s[18:19], 0x0
	v_mul_lo_u32 v1, s26, v3
	s_lshl_b64 s[20:21], s[0:1], 2
	v_and_b32_e32 v27, 0xffff, v26
	v_and_b32_e32 v21, 0xffff, v7
	v_mad_co_u64_u32 v[10:11], null, s13, v11, v[10:11]
	v_add_nc_u16 v29, v0, 0x2d0
	v_add_nc_u16 v35, v0, 0x3c0
	s_delay_alu instid0(VALU_DEP_4)
	v_mad_co_u64_u32 v[15:16], null, s12, v21, 0
	v_and_b32_e32 v17, 0xffff, v8
	v_lshlrev_b64_e32 v[13:14], 2, v[1:2]
	v_lshlrev_b64_e32 v[9:10], 2, v[9:10]
	v_add_nc_u16 v44, v0, 0x438
	v_add_nc_u16 v45, v0, 0x4b0
	v_mad_co_u64_u32 v[11:12], null, s12, v17, 0
	v_or_b32_e32 v58, 0x780, v0
	v_mul_lo_u16 v4, 0x78, v4
	s_wait_kmcnt 0x0
	s_mul_u64 s[18:19], s[18:19], s[16:17]
	s_mul_i32 s0, s2, s22
	s_lshl_b64 s[18:19], s[18:19], 2
	s_lshl_b64 s[0:1], s[0:1], 2
	v_mov_b32_e32 v1, v12
	s_add_nc_u64 s[8:9], s[8:9], s[18:19]
	v_or_b32_e32 v3, v4, v3
	s_wait_alu 0xfffe
	s_add_nc_u64 s[8:9], s[8:9], s[20:21]
	v_mad_u16 v4, 0x78, v8, v6
	v_mad_co_u64_u32 v[17:18], null, s13, v17, v[1:2]
	s_wait_alu 0xfffe
	v_add_co_u32 v1, vcc_lo, s8, v9
	v_add_co_ci_u32_e32 v10, vcc_lo, s9, v10, vcc_lo
	v_lshrrev_b32_e32 v9, 16, v19
	s_delay_alu instid0(VALU_DEP_3)
	v_add_co_u32 v18, vcc_lo, v1, v13
	v_mov_b32_e32 v12, v17
	s_wait_alu 0xfffd
	v_add_co_ci_u32_e32 v19, vcc_lo, v10, v14, vcc_lo
	v_mov_b32_e32 v10, v16
	v_mul_lo_u16 v16, v9, 17
	v_lshlrev_b64_e32 v[11:12], 2, v[11:12]
	v_add_nc_u16 v17, v0, 0x1e0
	v_mul_lo_u32 v1, s26, v6
	v_and_b32_e32 v3, 0xffff, v3
	v_and_b32_e32 v60, 0xffff, v58
	v_and_b32_e32 v4, 0xffff, v4
	v_mad_co_u64_u32 v[13:14], null, s13, v21, v[10:11]
	v_sub_nc_u16 v10, v20, v16
	v_and_b32_e32 v14, 0xffff, v17
	v_add_co_u32 v22, vcc_lo, s8, v11
	s_wait_alu 0xfffd
	v_add_co_ci_u32_e32 v23, vcc_lo, s9, v12, vcc_lo
	v_and_b32_e32 v24, 0xffff, v10
	v_mul_u32_u24_e32 v14, 0xf10, v14
	v_mov_b32_e32 v16, v13
	v_lshlrev_b64_e32 v[11:12], 2, v[1:2]
	v_mul_lo_u32 v1, s26, v5
	v_mad_co_u64_u32 v[20:21], null, s12, v24, 0
	v_lshrrev_b32_e32 v13, 16, v14
	v_lshlrev_b64_e32 v[15:16], 2, v[15:16]
	v_add_co_u32 v11, vcc_lo, v22, v11
	s_wait_alu 0xfffd
	v_add_co_ci_u32_e32 v12, vcc_lo, v23, v12, vcc_lo
	v_mov_b32_e32 v14, v21
	v_mul_lo_u16 v25, v13, 17
	v_mad_u16 v5, 0x78, v7, v5
	v_lshl_add_u32 v3, v3, 2, 0
	v_lshl_add_u32 v4, v4, 2, 0
	v_mad_co_u64_u32 v[21:22], null, s13, v24, v[14:15]
	v_lshlrev_b64_e32 v[22:23], 2, v[1:2]
	v_mul_u32_u24_e32 v1, 0xf10, v27
	v_sub_nc_u16 v14, v17, v25
	v_add_co_u32 v17, vcc_lo, s8, v15
	s_wait_alu 0xfffd
	v_add_co_ci_u32_e32 v16, vcc_lo, s9, v16, vcc_lo
	v_lshrrev_b32_e32 v15, 16, v1
	v_and_b32_e32 v27, 0xffff, v14
	v_add_co_u32 v22, vcc_lo, v17, v22
	v_lshlrev_b64_e32 v[20:21], 2, v[20:21]
	v_mul_lo_u32 v1, s26, v9
	s_wait_alu 0xfffd
	v_add_co_ci_u32_e32 v23, vcc_lo, v16, v23, vcc_lo
	v_mul_lo_u16 v16, v15, 17
	v_mad_co_u64_u32 v[24:25], null, s12, v27, 0
	v_add_co_u32 v28, vcc_lo, s8, v20
	s_delay_alu instid0(VALU_DEP_3)
	v_sub_nc_u16 v16, v26, v16
	s_wait_alu 0xfffd
	v_add_co_ci_u32_e32 v30, vcc_lo, s9, v21, vcc_lo
	v_lshlrev_b64_e32 v[20:21], 2, v[1:2]
	v_and_b32_e32 v1, 0xffff, v29
	v_mov_b32_e32 v17, v25
	v_and_b32_e32 v31, 0xffff, v16
	s_delay_alu instid0(VALU_DEP_3) | instskip(NEXT) | instid1(VALU_DEP_3)
	v_mul_u32_u24_e32 v1, 0xf10, v1
	v_mad_co_u64_u32 v[25:26], null, s13, v27, v[17:18]
	s_delay_alu instid0(VALU_DEP_3) | instskip(SKIP_1) | instid1(VALU_DEP_4)
	v_mad_co_u64_u32 v[26:27], null, s12, v31, 0
	v_add_co_u32 v20, vcc_lo, v28, v20
	v_lshrrev_b32_e32 v38, 16, v1
	s_wait_alu 0xfffd
	v_add_co_ci_u32_e32 v21, vcc_lo, v30, v21, vcc_lo
	v_add_nc_u16 v30, v0, 0x348
	v_mov_b32_e32 v17, v27
	v_mul_lo_u16 v32, v38, 17
	v_mul_lo_u32 v1, s26, v13
	v_lshlrev_b64_e32 v[24:25], 2, v[24:25]
	v_and_b32_e32 v33, 0xffff, v30
	v_mad_co_u64_u32 v[27:28], null, s13, v31, v[17:18]
	v_sub_nc_u16 v39, v29, v32
	s_delay_alu instid0(VALU_DEP_3) | instskip(SKIP_1) | instid1(VALU_DEP_3)
	v_mul_u32_u24_e32 v17, 0xf10, v33
	v_add_co_u32 v31, vcc_lo, s8, v24
	v_and_b32_e32 v33, 0xffff, v39
	s_wait_alu 0xfffd
	v_add_co_ci_u32_e32 v32, vcc_lo, s9, v25, vcc_lo
	v_lshrrev_b32_e32 v40, 16, v17
	v_lshlrev_b64_e32 v[24:25], 2, v[1:2]
	v_mul_lo_u32 v1, s26, v15
	v_mad_co_u64_u32 v[28:29], null, s12, v33, 0
	s_delay_alu instid0(VALU_DEP_4)
	v_mul_lo_u16 v17, v40, 17
	v_lshlrev_b64_e32 v[26:27], 2, v[26:27]
	v_add_co_u32 v24, vcc_lo, v31, v24
	s_wait_alu 0xfffd
	v_add_co_ci_u32_e32 v25, vcc_lo, v32, v25, vcc_lo
	v_sub_nc_u16 v41, v30, v17
	v_lshlrev_b64_e32 v[30:31], 2, v[1:2]
	v_and_b32_e32 v1, 0xffff, v35
	s_delay_alu instid0(VALU_DEP_3) | instskip(NEXT) | instid1(VALU_DEP_2)
	v_dual_mov_b32 v17, v29 :: v_dual_and_b32 v36, 0xffff, v41
	v_mul_u32_u24_e32 v1, 0xf10, v1
	s_delay_alu instid0(VALU_DEP_2) | instskip(NEXT) | instid1(VALU_DEP_3)
	v_mad_co_u64_u32 v[32:33], null, s13, v33, v[17:18]
	v_mad_co_u64_u32 v[33:34], null, s12, v36, 0
	s_delay_alu instid0(VALU_DEP_3)
	v_lshrrev_b32_e32 v42, 16, v1
	v_add_co_u32 v17, vcc_lo, s8, v26
	s_wait_alu 0xfffd
	v_add_co_ci_u32_e32 v27, vcc_lo, s9, v27, vcc_lo
	v_mov_b32_e32 v29, v32
	v_mul_lo_u16 v32, v42, 17
	v_add_co_u32 v26, vcc_lo, v17, v30
	v_mov_b32_e32 v17, v34
	s_wait_alu 0xfffd
	v_add_co_ci_u32_e32 v27, vcc_lo, v27, v31, vcc_lo
	v_sub_nc_u16 v43, v35, v32
	v_mul_lo_u32 v1, s26, v38
	v_mad_co_u64_u32 v[30:31], null, s13, v36, v[17:18]
	v_and_b32_e32 v35, 0xffff, v44
	s_delay_alu instid0(VALU_DEP_4) | instskip(SKIP_1) | instid1(VALU_DEP_4)
	v_and_b32_e32 v36, 0xffff, v43
	v_lshlrev_b64_e32 v[28:29], 2, v[28:29]
	v_mov_b32_e32 v34, v30
	s_delay_alu instid0(VALU_DEP_3) | instskip(NEXT) | instid1(VALU_DEP_3)
	v_mad_co_u64_u32 v[30:31], null, s12, v36, 0
	v_add_co_u32 v17, vcc_lo, s8, v28
	s_wait_alu 0xfffd
	s_delay_alu instid0(VALU_DEP_4) | instskip(SKIP_2) | instid1(VALU_DEP_2)
	v_add_co_ci_u32_e32 v32, vcc_lo, s9, v29, vcc_lo
	v_lshlrev_b64_e32 v[28:29], 2, v[1:2]
	v_mul_lo_u32 v1, s26, v40
	v_add_co_u32 v28, vcc_lo, v17, v28
	v_mov_b32_e32 v17, v31
	v_mul_u32_u24_e32 v31, 0xf10, v35
	s_wait_alu 0xfffd
	v_add_co_ci_u32_e32 v29, vcc_lo, v32, v29, vcc_lo
	v_lshlrev_b64_e32 v[32:33], 2, v[33:34]
	v_mad_co_u64_u32 v[36:37], null, s13, v36, v[17:18]
	v_lshrrev_b32_e32 v37, 16, v31
	v_lshlrev_b64_e32 v[34:35], 2, v[1:2]
	v_and_b32_e32 v1, 0xffff, v45
	v_add_co_u32 v17, vcc_lo, s8, v32
	s_delay_alu instid0(VALU_DEP_4) | instskip(SKIP_2) | instid1(VALU_DEP_3)
	v_mul_lo_u16 v46, v37, 17
	s_wait_alu 0xfffd
	v_add_co_ci_u32_e32 v31, vcc_lo, s9, v33, vcc_lo
	v_add_co_u32 v32, vcc_lo, v17, v34
	s_delay_alu instid0(VALU_DEP_3)
	v_sub_nc_u16 v34, v44, v46
	v_mul_u32_u24_e32 v1, 0xf10, v1
	s_wait_alu 0xfffd
	v_add_co_ci_u32_e32 v33, vcc_lo, v31, v35, vcc_lo
	v_mov_b32_e32 v31, v36
	s_clause 0x7
	global_load_b32 v36, v[18:19], off
	global_load_b32 v44, v[11:12], off
	;; [unrolled: 1-line block ×8, first 2 shown]
	v_and_b32_e32 v20, 0xffff, v34
	v_lshrrev_b32_e32 v35, 16, v1
	v_add_nc_u16 v24, v0, 0x528
	v_lshlrev_b64_e32 v[11:12], 2, v[30:31]
	v_mul_lo_u32 v1, s26, v42
	v_mad_co_u64_u32 v[17:18], null, s12, v20, 0
	v_mul_lo_u16 v19, v35, 17
	v_and_b32_e32 v21, 0xffff, v24
	v_add_co_u32 v22, vcc_lo, s8, v11
	s_wait_alu 0xfffd
	v_add_co_ci_u32_e32 v23, vcc_lo, s9, v12, vcc_lo
	v_sub_nc_u16 v31, v45, v19
	v_mov_b32_e32 v11, v18
	v_lshlrev_b64_e32 v[18:19], 2, v[1:2]
	v_mul_u32_u24_e32 v1, 0xf10, v21
	v_add_nc_u16 v26, v0, 0x5a0
	v_and_b32_e32 v25, 0xffff, v31
	v_mad_co_u64_u32 v[11:12], null, s13, v20, v[11:12]
	s_delay_alu instid0(VALU_DEP_4) | instskip(SKIP_1) | instid1(VALU_DEP_4)
	v_lshrrev_b32_e32 v33, 16, v1
	v_add_co_u32 v22, vcc_lo, v22, v18
	v_mad_co_u64_u32 v[20:21], null, s12, v25, 0
	s_delay_alu instid0(VALU_DEP_3)
	v_mul_lo_u16 v12, v33, 17
	v_mov_b32_e32 v18, v11
	s_wait_alu 0xfffd
	v_add_co_ci_u32_e32 v23, vcc_lo, v23, v19, vcc_lo
	v_and_b32_e32 v19, 0xffff, v26
	v_sub_nc_u16 v45, v24, v12
	v_mov_b32_e32 v11, v21
	v_mul_lo_u32 v1, s26, v37
	v_lshlrev_b64_e32 v[17:18], 2, v[17:18]
	v_mul_u32_u24_e32 v19, 0xf10, v19
	v_and_b32_e32 v27, 0xffff, v45
	v_mad_co_u64_u32 v[11:12], null, s13, v25, v[11:12]
	v_add_nc_u16 v30, v0, 0x618
	v_add_co_u32 v12, vcc_lo, s8, v17
	v_lshrrev_b32_e32 v51, 16, v19
	s_wait_alu 0xfffd
	v_add_co_ci_u32_e32 v19, vcc_lo, s9, v18, vcc_lo
	v_lshlrev_b64_e32 v[17:18], 2, v[1:2]
	v_mad_co_u64_u32 v[24:25], null, s12, v27, 0
	v_mov_b32_e32 v21, v11
	v_mul_lo_u16 v28, v51, 17
	v_mul_lo_u32 v1, s26, v35
	v_add_co_u32 v11, vcc_lo, v12, v17
	s_wait_alu 0xfffd
	v_add_co_ci_u32_e32 v12, vcc_lo, v19, v18, vcc_lo
	v_lshlrev_b64_e32 v[18:19], 2, v[20:21]
	v_sub_nc_u16 v52, v26, v28
	s_delay_alu instid0(VALU_DEP_1) | instskip(NEXT) | instid1(VALU_DEP_1)
	v_dual_mov_b32 v17, v25 :: v_dual_and_b32 v28, 0xffff, v52
	v_mad_co_u64_u32 v[20:21], null, s13, v27, v[17:18]
	v_and_b32_e32 v21, 0xffff, v30
	v_add_co_u32 v29, vcc_lo, s8, v18
	s_delay_alu instid0(VALU_DEP_4)
	v_mad_co_u64_u32 v[26:27], null, s12, v28, 0
	v_lshlrev_b64_e32 v[17:18], 2, v[1:2]
	v_mov_b32_e32 v25, v20
	v_mul_lo_u32 v1, s26, v33
	s_wait_alu 0xfffd
	v_add_co_ci_u32_e32 v53, vcc_lo, s9, v19, vcc_lo
	v_mov_b32_e32 v19, v27
	v_mul_u32_u24_e32 v27, 0xf10, v21
	v_lshlrev_b64_e32 v[20:21], 2, v[24:25]
	v_add_co_u32 v17, vcc_lo, v29, v17
	s_wait_alu 0xfffd
	v_add_co_ci_u32_e32 v18, vcc_lo, v53, v18, vcc_lo
	v_lshrrev_b32_e32 v54, 16, v27
	s_delay_alu instid0(VALU_DEP_4)
	v_mad_co_u64_u32 v[24:25], null, s13, v28, v[19:20]
	v_lshlrev_b64_e32 v[28:29], 2, v[1:2]
	v_add_co_u32 v19, vcc_lo, s8, v20
	s_wait_alu 0xfffd
	v_add_co_ci_u32_e32 v20, vcc_lo, s9, v21, vcc_lo
	v_add_nc_u16 v21, v0, 0x690
	v_mul_lo_u16 v1, v54, 17
	v_add_co_u32 v19, vcc_lo, v19, v28
	s_wait_alu 0xfffd
	v_add_co_ci_u32_e32 v20, vcc_lo, v20, v29, vcc_lo
	v_and_b32_e32 v29, 0xffff, v21
	v_sub_nc_u16 v53, v30, v1
	v_add_nc_u16 v30, v0, 0x708
	v_mov_b32_e32 v27, v24
	v_mul_lo_u32 v1, s26, v51
	v_mul_u32_u24_e32 v29, 0xf10, v29
	v_and_b32_e32 v28, 0xffff, v53
	s_delay_alu instid0(VALU_DEP_4) | instskip(NEXT) | instid1(VALU_DEP_3)
	v_lshlrev_b64_e32 v[24:25], 2, v[26:27]
	v_lshrrev_b32_e32 v57, 16, v29
	v_and_b32_e32 v29, 0xffff, v30
	s_delay_alu instid0(VALU_DEP_4) | instskip(NEXT) | instid1(VALU_DEP_4)
	v_mad_co_u64_u32 v[26:27], null, s12, v28, 0
	v_add_co_u32 v55, vcc_lo, s8, v24
	s_delay_alu instid0(VALU_DEP_3)
	v_mul_u32_u24_e32 v29, 0xf10, v29
	s_wait_alu 0xfffd
	v_add_co_ci_u32_e32 v56, vcc_lo, s9, v25, vcc_lo
	v_lshlrev_b64_e32 v[24:25], 2, v[1:2]
	v_mov_b32_e32 v1, v27
	v_mul_lo_u16 v59, v57, 17
	v_lshrrev_b32_e32 v61, 16, v29
	s_delay_alu instid0(VALU_DEP_3) | instskip(NEXT) | instid1(VALU_DEP_3)
	v_mad_co_u64_u32 v[27:28], null, s13, v28, v[1:2]
	v_sub_nc_u16 v59, v21, v59
	v_mul_u32_u24_e32 v1, 0xf10, v60
	v_add_co_u32 v24, vcc_lo, v55, v24
	v_mul_lo_u16 v55, v61, 17
	s_wait_alu 0xfffd
	v_add_co_ci_u32_e32 v25, vcc_lo, v56, v25, vcc_lo
	v_and_b32_e32 v21, 0xffff, v59
	v_lshrrev_b32_e32 v56, 16, v1
	v_sub_nc_u16 v55, v30, v55
	s_clause 0x4
	global_load_b32 v60, v[22:23], off
	global_load_b32 v62, v[11:12], off
	;; [unrolled: 1-line block ×5, first 2 shown]
	v_lshlrev_b64_e32 v[11:12], 2, v[26:27]
	v_mad_co_u64_u32 v[28:29], null, s12, v21, 0
	v_mul_lo_u16 v1, v56, 17
	v_and_b32_e32 v25, 0xffff, v55
	s_delay_alu instid0(VALU_DEP_2) | instskip(NEXT) | instid1(VALU_DEP_2)
	v_sub_nc_u16 v58, v58, v1
	v_mad_co_u64_u32 v[18:19], null, s12, v25, 0
	v_mov_b32_e32 v17, v29
	v_mul_lo_u32 v1, s26, v54
	s_delay_alu instid0(VALU_DEP_4) | instskip(NEXT) | instid1(VALU_DEP_3)
	v_and_b32_e32 v30, 0xffff, v58
	v_mad_co_u64_u32 v[20:21], null, s13, v21, v[17:18]
	s_delay_alu instid0(VALU_DEP_2)
	v_mad_co_u64_u32 v[21:22], null, s12, v30, 0
	v_add_co_u32 v17, vcc_lo, s8, v11
	v_mov_b32_e32 v11, v19
	v_lshlrev_b64_e32 v[23:24], 2, v[1:2]
	s_wait_alu 0xfffd
	v_add_co_ci_u32_e32 v26, vcc_lo, s9, v12, vcc_lo
	v_mov_b32_e32 v29, v20
	v_mad_co_u64_u32 v[11:12], null, s13, v25, v[11:12]
	v_mul_lo_u32 v1, s26, v57
	v_mov_b32_e32 v12, v22
	v_add_co_u32 v23, vcc_lo, v17, v23
	s_wait_alu 0xfffd
	v_add_co_ci_u32_e32 v24, vcc_lo, v26, v24, vcc_lo
	v_lshlrev_b64_e32 v[25:26], 2, v[28:29]
	v_mad_co_u64_u32 v[29:30], null, s13, v30, v[12:13]
	v_lshlrev_b64_e32 v[27:28], 2, v[1:2]
	v_mul_lo_u32 v1, s26, v61
	v_mov_b32_e32 v19, v11
	v_add_co_u32 v17, vcc_lo, s8, v25
	s_wait_alu 0xfffd
	v_add_co_ci_u32_e32 v20, vcc_lo, s9, v26, vcc_lo
	v_mov_b32_e32 v22, v29
	s_delay_alu instid0(VALU_DEP_3)
	v_add_co_u32 v17, vcc_lo, v17, v27
	v_lshlrev_b64_e32 v[11:12], 2, v[18:19]
	s_wait_alu 0xfffd
	v_add_co_ci_u32_e32 v18, vcc_lo, v20, v28, vcc_lo
	v_lshlrev_b64_e32 v[19:20], 2, v[1:2]
	v_mul_lo_u32 v1, s26, v56
	v_lshlrev_b64_e32 v[21:22], 2, v[21:22]
	v_add_co_u32 v25, vcc_lo, s8, v11
	s_wait_alu 0xfffd
	v_add_co_ci_u32_e32 v26, vcc_lo, s9, v12, vcc_lo
	s_delay_alu instid0(VALU_DEP_3)
	v_add_co_u32 v21, vcc_lo, s8, v21
	v_lshlrev_b64_e32 v[11:12], 2, v[1:2]
	s_wait_alu 0xfffd
	v_add_co_ci_u32_e32 v22, vcc_lo, s9, v22, vcc_lo
	v_add_co_u32 v19, vcc_lo, v25, v19
	s_wait_alu 0xfffd
	v_add_co_ci_u32_e32 v20, vcc_lo, v26, v20, vcc_lo
	v_add_co_u32 v11, vcc_lo, v21, v11
	s_wait_alu 0xfffd
	v_add_co_ci_u32_e32 v12, vcc_lo, v22, v12, vcc_lo
	s_clause 0x3
	global_load_b32 v1, v[23:24], off
	global_load_b32 v17, v[17:18], off
	;; [unrolled: 1-line block ×4, first 2 shown]
	v_mul_u32_u24_e32 v11, 0x223, v0
	s_add_nc_u64 s[8:9], s[24:25], s[14:15]
	s_load_b64 s[8:9], s[8:9], 0x0
	s_wait_loadcnt 0x10
	ds_store_b32 v3, v36
	s_wait_loadcnt 0xf
	ds_store_b32 v4, v44
	v_lshrrev_b32_e32 v11, 16, v11
	v_mad_u16 v3, 0x78, v10, v9
	v_mad_u16 v4, 0x78, v14, v13
	s_wait_kmcnt 0x0
	s_mul_u64 s[2:3], s[8:9], s[16:17]
	v_mul_lo_u16 v6, 0x78, v11
	v_and_b32_e32 v3, 0xffff, v3
	v_and_b32_e32 v4, 0xffff, v4
	s_wait_alu 0xfffe
	s_lshl_b64 s[2:3], s[2:3], 2
	v_sub_nc_u16 v0, v0, v6
	v_mad_u16 v6, 0x78, v39, v38
	s_wait_alu 0xfffe
	s_add_nc_u64 s[2:3], s[10:11], s[2:3]
	s_wait_alu 0xfffe
	s_add_nc_u64 s[0:1], s[2:3], s[0:1]
	v_and_b32_e32 v12, 0xffff, v0
	v_and_b32_e32 v0, 0xffff, v5
	v_mad_u16 v5, 0x78, v16, v15
	v_and_b32_e32 v6, 0xffff, v6
	s_delay_alu instid0(VALU_DEP_4) | instskip(NEXT) | instid1(VALU_DEP_4)
	v_lshlrev_b32_e32 v7, 2, v12
	v_lshl_add_u32 v0, v0, 2, 0
	s_delay_alu instid0(VALU_DEP_4)
	v_and_b32_e32 v5, 0xffff, v5
	s_wait_loadcnt 0xe
	ds_store_b32 v0, v46
	v_lshl_add_u32 v0, v3, 2, 0
	v_lshl_add_u32 v3, v4, 2, 0
	;; [unrolled: 1-line block ×4, first 2 shown]
	v_mad_u16 v6, 0x78, v41, v40
	s_wait_loadcnt 0xd
	ds_store_b32 v0, v47
	s_wait_loadcnt 0xc
	ds_store_b32 v3, v48
	;; [unrolled: 2-line block ×4, first 2 shown]
	v_mad_u16 v3, 0x78, v43, v42
	v_mad_u16 v4, 0x78, v34, v37
	;; [unrolled: 1-line block ×3, first 2 shown]
	v_and_b32_e32 v0, 0xffff, v6
	v_mad_u16 v6, 0x78, v45, v33
	v_and_b32_e32 v3, 0xffff, v3
	v_and_b32_e32 v4, 0xffff, v4
	;; [unrolled: 1-line block ×3, first 2 shown]
	v_lshl_add_u32 v0, v0, 2, 0
	v_and_b32_e32 v6, 0xffff, v6
	s_wait_loadcnt 0x9
	ds_store_b32 v0, v32
	v_lshl_add_u32 v0, v3, 2, 0
	v_lshl_add_u32 v3, v4, 2, 0
	;; [unrolled: 1-line block ×4, first 2 shown]
	v_mad_u16 v6, 0x78, v52, v51
	s_wait_loadcnt 0x8
	ds_store_b32 v0, v60
	s_wait_loadcnt 0x7
	ds_store_b32 v3, v62
	;; [unrolled: 2-line block ×4, first 2 shown]
	v_and_b32_e32 v0, 0xffff, v6
	v_mad_u16 v3, 0x78, v53, v54
	v_mad_u16 v4, 0x78, v59, v57
	;; [unrolled: 1-line block ×4, first 2 shown]
	v_lshl_add_u32 v0, v0, 2, 0
	v_and_b32_e32 v3, 0xffff, v3
	v_and_b32_e32 v4, 0xffff, v4
	;; [unrolled: 1-line block ×4, first 2 shown]
	s_wait_loadcnt 0x4
	ds_store_b32 v0, v65
	v_lshl_add_u32 v0, v3, 2, 0
	v_lshl_add_u32 v3, v4, 2, 0
	;; [unrolled: 1-line block ×4, first 2 shown]
	v_mul_u32_u24_e32 v6, 0x1e0, v11
	s_wait_loadcnt 0x3
	ds_store_b32 v0, v1
	s_wait_loadcnt 0x2
	ds_store_b32 v3, v17
	;; [unrolled: 2-line block ×4, first 2 shown]
	v_add3_u32 v13, 0, v6, v7
	global_wb scope:SCOPE_SE
	s_wait_dscnt 0x0
	s_barrier_signal -1
	s_barrier_wait -1
	global_inv scope:SCOPE_SE
	ds_load_2addr_b32 v[23:24], v13 offset1:120
	v_add_nc_u32_e32 v0, 0x200, v13
	v_add_nc_u32_e32 v1, 0xe00, v13
	;; [unrolled: 1-line block ×4, first 2 shown]
	ds_load_2addr_b32 v[25:26], v0 offset0:112 offset1:232
	v_add_nc_u32_e32 v0, 0x600, v13
	ds_load_2addr_b32 v[27:28], v21 offset0:16 offset1:136
	ds_load_2addr_b32 v[7:8], v0 offset0:96 offset1:216
	v_add_nc_u32_e32 v0, 0xa00, v13
	ds_load_2addr_b32 v[3:4], v0 offset0:80 offset1:200
	s_wait_dscnt 0x4
	v_lshrrev_b32_e32 v29, 16, v24
	v_lshrrev_b32_e32 v30, 16, v23
	v_add_f16_e32 v5, v24, v23
	s_wait_dscnt 0x3
	v_lshrrev_b32_e32 v31, 16, v25
	s_delay_alu instid0(VALU_DEP_3)
	v_add_f16_e32 v0, v29, v30
	v_lshrrev_b32_e32 v32, 16, v26
	v_add_f16_e32 v5, v5, v25
	s_wait_dscnt 0x2
	v_lshrrev_b32_e32 v36, 16, v27
	v_lshrrev_b32_e32 v37, 16, v28
	v_add_f16_e32 v6, v0, v31
	s_wait_dscnt 0x1
	v_lshrrev_b32_e32 v22, 16, v7
	ds_load_2addr_b32 v[0:1], v1 offset0:64 offset1:184
	v_add_f16_e32 v10, v5, v26
	v_lshrrev_b32_e32 v20, 16, v8
	v_add_f16_e32 v6, v6, v32
	s_wait_dscnt 0x1
	v_lshrrev_b32_e32 v18, 16, v3
	v_lshrrev_b32_e32 v16, 16, v4
	v_sub_f16_e32 v67, v31, v37
	v_add_f16_e32 v69, v28, v25
	v_add_f16_e32 v14, v6, v22
	ds_load_2addr_b32 v[5:6], v9 offset0:48 offset1:168
	v_add_f16_e32 v9, v10, v7
	v_mul_f16_e32 v70, 0xb964, v67
	v_sub_f16_e32 v25, v25, v28
	v_add_f16_e32 v10, v14, v20
	v_add_nc_u32_e32 v14, 0x1600, v13
	v_add_f16_e32 v15, v9, v8
	ds_load_b32 v13, v13 offset:7680
	v_add_f16_e32 v17, v10, v18
	ds_load_2addr_b32 v[9:10], v14 offset0:32 offset1:152
	v_add_f16_e32 v19, v15, v3
	s_wait_dscnt 0x3
	v_lshrrev_b32_e32 v14, 16, v0
	v_lshrrev_b32_e32 v15, 16, v1
	v_add_f16_e32 v17, v17, v16
	v_add_f16_e32 v19, v19, v4
	s_delay_alu instid0(VALU_DEP_2) | instskip(SKIP_2) | instid1(VALU_DEP_3)
	v_add_f16_e32 v33, v17, v14
	s_wait_dscnt 0x2
	v_lshrrev_b32_e32 v17, 16, v5
	v_add_f16_e32 v21, v19, v0
	v_lshrrev_b32_e32 v19, 16, v6
	v_add_f16_e32 v33, v33, v15
	s_delay_alu instid0(VALU_DEP_3)
	v_add_f16_e32 v34, v21, v1
	s_wait_dscnt 0x1
	v_lshrrev_b32_e32 v38, 16, v13
	v_sub_f16_e32 v40, v24, v13
	v_add_f16_e32 v33, v33, v17
	s_wait_dscnt 0x0
	v_lshrrev_b32_e32 v21, 16, v9
	v_add_f16_e32 v34, v34, v5
	v_lshrrev_b32_e32 v35, 16, v10
	v_sub_f16_e32 v39, v29, v38
	v_add_f16_e32 v33, v33, v19
	v_add_f16_e32 v24, v13, v24
	;; [unrolled: 1-line block ×4, first 2 shown]
	v_mul_f16_e32 v41, 0xb5c8, v39
	v_add_f16_e32 v33, v33, v21
	v_mul_f16_e32 v42, 0xb964, v39
	v_add_f16_e32 v34, v34, v9
	v_mul_f16_e32 v44, 0xb964, v40
	v_mul_f16_e32 v45, 0xbb29, v39
	v_add_f16_e32 v33, v33, v35
	v_mul_f16_e32 v48, 0xbb29, v40
	v_add_f16_e32 v34, v34, v10
	v_mul_f16_e32 v50, 0xbbf7, v39
	v_mul_f16_e32 v51, 0xbbf7, v40
	v_add_f16_e32 v33, v33, v36
	v_mul_f16_e32 v54, 0xbbb2, v39
	v_add_f16_e32 v34, v34, v27
	v_mul_f16_e32 v56, 0xbbb2, v40
	v_mul_f16_e32 v57, 0xba62, v39
	v_add_f16_e32 v33, v33, v37
	v_mul_f16_e32 v60, 0xba62, v40
	v_add_f16_e32 v34, v34, v28
	v_mul_f16_e32 v62, 0xb836, v39
	v_mul_f16_e32 v63, 0xb836, v40
	v_add_f16_e32 v33, v33, v38
	v_fma_f16 v38, v24, 0x3b76, -v41
	v_add_f16_e32 v34, v34, v13
	v_mul_f16_e32 v39, 0xb1e1, v39
	v_fmac_f16_e32 v41, 0x3b76, v24
	v_lshlrev_b32_e32 v33, 16, v33
	v_add_f16_e32 v38, v38, v23
	v_and_b32_e32 v13, 0xffff, v34
	v_mul_f16_e32 v34, 0xb5c8, v40
	v_mul_f16_e32 v40, 0xb1e1, v40
	v_fma_f16 v43, v24, 0x39e9, -v42
	v_fmamk_f16 v46, v29, 0x39e9, v44
	v_or_b32_e32 v13, v33, v13
	v_fmamk_f16 v33, v29, 0x3b76, v34
	v_fma_f16 v34, v29, 0x3b76, -v34
	v_fmac_f16_e32 v42, 0x39e9, v24
	v_fma_f16 v44, v29, 0x39e9, -v44
	v_fma_f16 v47, v24, 0x3722, -v45
	v_fmamk_f16 v49, v29, 0x3722, v48
	v_fmac_f16_e32 v45, 0x3722, v24
	v_fma_f16 v48, v29, 0x3722, -v48
	v_fma_f16 v52, v24, 0x2de8, -v50
	v_fmamk_f16 v53, v29, 0x2de8, v51
	;; [unrolled: 4-line block ×6, first 2 shown]
	v_fmac_f16_e32 v39, 0xbbdd, v24
	v_fma_f16 v24, v29, 0xbbdd, -v40
	v_add_f16_e32 v28, v37, v31
	v_fma_f16 v29, v69, 0x39e9, -v70
	v_mul_f16_e32 v31, 0xb964, v25
	v_add_f16_e32 v33, v33, v30
	v_add_f16_e32 v41, v41, v23
	;; [unrolled: 1-line block ×32, first 2 shown]
	v_fmamk_f16 v30, v28, 0x39e9, v31
	v_mul_f16_e32 v38, 0xbbf7, v67
	v_fmac_f16_e32 v70, 0x39e9, v69
	v_fma_f16 v31, v28, 0x39e9, -v31
	v_mul_f16_e32 v39, 0xbbf7, v25
	v_add_f16_e32 v30, v30, v33
	v_fma_f16 v33, v69, 0x2de8, -v38
	v_add_f16_e32 v40, v70, v41
	v_add_f16_e32 v31, v31, v34
	v_fmamk_f16 v34, v28, 0x2de8, v39
	v_mul_f16_e32 v41, 0xba62, v67
	v_fmac_f16_e32 v38, 0x2de8, v69
	v_add_f16_e32 v33, v33, v43
	v_fma_f16 v39, v28, 0x2de8, -v39
	v_add_f16_e32 v34, v34, v46
	v_fma_f16 v43, v69, 0xb8d2, -v41
	v_mul_f16_e32 v46, 0xba62, v25
	v_add_f16_e32 v38, v38, v42
	v_mul_f16_e32 v42, 0xb1e1, v67
	v_add_f16_e32 v39, v39, v44
	v_add_f16_e32 v43, v43, v47
	v_fmamk_f16 v44, v28, 0xb8d2, v46
	v_fmac_f16_e32 v41, 0xb8d2, v69
	v_fma_f16 v46, v28, 0xb8d2, -v46
	v_fma_f16 v47, v69, 0xbbdd, -v42
	v_mul_f16_e32 v68, 0xb1e1, v25
	v_fmac_f16_e32 v42, 0xbbdd, v69
	v_add_f16_e32 v41, v41, v45
	v_add_f16_e32 v45, v46, v48
	;; [unrolled: 1-line block ×3, first 2 shown]
	v_mul_f16_e32 v52, 0x3836, v25
	v_add_f16_e32 v44, v44, v49
	v_fmamk_f16 v47, v28, 0xbbdd, v68
	v_mul_f16_e32 v48, 0x3836, v67
	v_fma_f16 v49, v28, 0xbbdd, -v68
	v_add_f16_e32 v42, v42, v50
	v_fmamk_f16 v50, v28, 0xbacd, v52
	v_add_f16_e32 v47, v47, v53
	v_fma_f16 v53, v69, 0xbacd, -v48
	v_add_f16_e32 v49, v49, v51
	v_mul_f16_e32 v51, 0x3bb2, v67
	v_fmac_f16_e32 v48, 0xbacd, v69
	v_fma_f16 v52, v28, 0xbacd, -v52
	v_add_f16_e32 v50, v50, v58
	v_mul_f16_e32 v58, 0x3bb2, v25
	v_add_f16_e32 v53, v53, v55
	v_fma_f16 v55, v69, 0xb461, -v51
	v_add_f16_e32 v48, v48, v54
	v_add_f16_e32 v52, v52, v56
	v_mul_f16_e32 v54, 0x3b29, v67
	v_fmamk_f16 v56, v28, 0xb461, v58
	v_fmac_f16_e32 v51, 0xb461, v69
	v_fma_f16 v58, v28, 0xb461, -v58
	v_add_f16_e32 v55, v55, v59
	v_fma_f16 v59, v69, 0x3722, -v54
	v_mul_f16_e32 v68, 0x3b29, v25
	v_add_f16_e32 v51, v51, v57
	v_add_f16_e32 v57, v58, v60
	v_mul_f16_e32 v60, 0x35c8, v67
	v_fmac_f16_e32 v54, 0x3722, v69
	v_add_f16_e32 v56, v56, v61
	v_add_f16_e32 v58, v59, v64
	v_fmamk_f16 v59, v28, 0x3722, v68
	v_mul_f16_e32 v25, 0x35c8, v25
	v_fma_f16 v61, v28, 0x3722, -v68
	v_fma_f16 v64, v69, 0x3b76, -v60
	v_add_f16_e32 v54, v54, v62
	v_sub_f16_e32 v62, v32, v36
	v_add_f16_e32 v59, v59, v65
	v_fmamk_f16 v65, v28, 0x3b76, v25
	v_add_f16_e32 v61, v61, v63
	v_add_f16_e32 v63, v64, v66
	;; [unrolled: 1-line block ×3, first 2 shown]
	v_sub_f16_e32 v26, v26, v27
	v_mul_f16_e32 v27, 0xbb29, v62
	v_fma_f16 v25, v28, 0x3b76, -v25
	v_fmac_f16_e32 v60, 0x3b76, v69
	v_add_f16_e32 v28, v36, v32
	v_mul_f16_e32 v32, 0xbb29, v26
	v_fma_f16 v36, v64, 0x3722, -v27
	v_add_f16_e32 v24, v25, v24
	v_mul_f16_e32 v25, 0xba62, v62
	v_add_f16_e32 v23, v60, v23
	v_fmamk_f16 v60, v28, 0x3722, v32
	v_add_f16_e32 v29, v36, v29
	v_fma_f16 v32, v28, 0x3722, -v32
	v_fma_f16 v36, v64, 0xb8d2, -v25
	v_fmac_f16_e32 v27, 0x3722, v64
	v_add_f16_e32 v30, v60, v30
	v_mul_f16_e32 v60, 0xba62, v26
	v_add_f16_e32 v31, v32, v31
	v_add_f16_e32 v32, v36, v33
	v_mul_f16_e32 v33, 0x31e1, v62
	v_add_f16_e32 v37, v65, v37
	v_add_f16_e32 v27, v27, v40
	v_fmamk_f16 v36, v28, 0xb8d2, v60
	v_fmac_f16_e32 v25, 0xb8d2, v64
	v_fma_f16 v40, v28, 0xb8d2, -v60
	v_mul_f16_e32 v60, 0x31e1, v26
	v_fma_f16 v65, v64, 0xbbdd, -v33
	v_add_f16_e32 v34, v36, v34
	v_add_f16_e32 v25, v25, v38
	;; [unrolled: 1-line block ×3, first 2 shown]
	v_fmamk_f16 v38, v28, 0xbbdd, v60
	v_add_f16_e32 v39, v65, v43
	v_mul_f16_e32 v40, 0x3bb2, v62
	v_fmac_f16_e32 v33, 0xbbdd, v64
	v_fma_f16 v43, v28, 0xbbdd, -v60
	v_add_f16_e32 v38, v38, v44
	v_mul_f16_e32 v44, 0x3bb2, v26
	v_fma_f16 v60, v64, 0xb461, -v40
	v_add_f16_e32 v33, v33, v41
	v_add_f16_e32 v41, v43, v45
	v_mul_f16_e32 v43, 0x3964, v62
	v_fmamk_f16 v45, v28, 0xb461, v44
	v_add_f16_e32 v46, v60, v46
	v_fmac_f16_e32 v40, 0xb461, v64
	v_fma_f16 v44, v28, 0xb461, -v44
	v_fma_f16 v60, v64, 0x39e9, -v43
	v_add_f16_e32 v45, v45, v47
	v_mul_f16_e32 v47, 0x3964, v26
	v_add_f16_e32 v40, v40, v42
	v_add_f16_e32 v42, v44, v49
	;; [unrolled: 1-line block ×3, first 2 shown]
	v_mul_f16_e32 v49, 0xb5c8, v62
	v_fmac_f16_e32 v43, 0x39e9, v64
	v_mul_f16_e32 v60, 0xb5c8, v26
	v_fmamk_f16 v53, v28, 0x39e9, v47
	v_fma_f16 v47, v28, 0x39e9, -v47
	v_fma_f16 v65, v64, 0x3b76, -v49
	v_add_f16_e32 v43, v43, v48
	v_fmamk_f16 v48, v28, 0x3b76, v60
	v_add_f16_e32 v50, v53, v50
	v_add_f16_e32 v47, v47, v52
	;; [unrolled: 1-line block ×3, first 2 shown]
	v_mul_f16_e32 v53, 0xbbf7, v62
	v_fmac_f16_e32 v49, 0x3b76, v64
	v_fma_f16 v55, v28, 0x3b76, -v60
	v_add_f16_e32 v48, v48, v56
	v_mul_f16_e32 v56, 0xbbf7, v26
	v_fma_f16 v60, v64, 0x2de8, -v53
	v_add_f16_e32 v49, v49, v51
	v_add_f16_e32 v51, v55, v57
	v_mul_f16_e32 v55, 0xb836, v62
	v_fmamk_f16 v57, v28, 0x2de8, v56
	v_fmac_f16_e32 v53, 0x2de8, v64
	v_fma_f16 v56, v28, 0x2de8, -v56
	v_add_f16_e32 v58, v60, v58
	v_fma_f16 v60, v64, 0xbacd, -v55
	v_add_f16_e32 v57, v57, v59
	v_mul_f16_e32 v26, 0xb836, v26
	v_add_f16_e32 v53, v53, v54
	v_add_f16_e32 v54, v56, v61
	v_sub_f16_e32 v59, v22, v35
	v_sub_f16_e32 v61, v7, v10
	v_add_f16_e32 v56, v60, v63
	v_fmamk_f16 v60, v28, 0xbacd, v26
	v_fmac_f16_e32 v55, 0xbacd, v64
	v_add_f16_e32 v7, v10, v7
	v_mul_f16_e32 v10, 0xbbf7, v59
	v_fma_f16 v26, v28, 0xbacd, -v26
	v_add_f16_e32 v22, v35, v22
	v_mul_f16_e32 v28, 0xbbf7, v61
	v_add_f16_e32 v35, v60, v37
	v_fma_f16 v37, v7, 0x2de8, -v10
	v_add_f16_e32 v23, v55, v23
	v_add_f16_e32 v24, v26, v24
	v_fmamk_f16 v26, v22, 0x2de8, v28
	v_mul_f16_e32 v55, 0xb1e1, v59
	v_fmac_f16_e32 v10, 0x2de8, v7
	v_fma_f16 v28, v22, 0x2de8, -v28
	v_add_f16_e32 v29, v37, v29
	v_add_f16_e32 v26, v26, v30
	v_fma_f16 v30, v7, 0xbbdd, -v55
	v_mul_f16_e32 v37, 0xb1e1, v61
	v_add_f16_e32 v10, v10, v27
	v_add_f16_e32 v27, v28, v31
	v_mul_f16_e32 v28, 0x3bb2, v59
	v_add_f16_e32 v30, v30, v32
	v_fmamk_f16 v31, v22, 0xbbdd, v37
	v_fma_f16 v32, v22, 0xbbdd, -v37
	v_mul_f16_e32 v60, 0x3bb2, v61
	v_fma_f16 v37, v7, 0xb461, -v28
	v_fmac_f16_e32 v55, 0xbbdd, v7
	v_add_f16_e32 v31, v31, v34
	v_add_f16_e32 v32, v32, v36
	v_fmamk_f16 v36, v22, 0xb461, v60
	v_add_f16_e32 v34, v37, v39
	v_mul_f16_e32 v37, 0x35c8, v59
	v_add_f16_e32 v25, v55, v25
	v_fmac_f16_e32 v28, 0xb461, v7
	v_fma_f16 v39, v22, 0xb461, -v60
	v_mul_f16_e32 v55, 0x35c8, v61
	v_add_f16_e32 v36, v36, v38
	v_fma_f16 v38, v7, 0x3b76, -v37
	v_add_f16_e32 v28, v28, v33
	v_add_f16_e32 v33, v39, v41
	v_fmamk_f16 v39, v22, 0x3b76, v55
	v_mul_f16_e32 v41, 0xbb29, v59
	v_add_f16_e32 v38, v38, v46
	v_fmac_f16_e32 v37, 0x3b76, v7
	v_fma_f16 v46, v22, 0x3b76, -v55
	v_add_f16_e32 v39, v39, v45
	v_fma_f16 v45, v7, 0x3722, -v41
	v_mul_f16_e32 v55, 0xbb29, v61
	v_add_f16_e32 v37, v37, v40
	v_add_f16_e32 v40, v46, v42
	v_mul_f16_e32 v42, 0xb836, v59
	v_add_f16_e32 v44, v45, v44
	v_fmamk_f16 v45, v22, 0x3722, v55
	v_fmac_f16_e32 v41, 0x3722, v7
	v_fma_f16 v46, v22, 0x3722, -v55
	v_fma_f16 v55, v7, 0xbacd, -v42
	v_mul_f16_e32 v60, 0xb836, v61
	v_add_f16_e32 v45, v45, v50
	v_add_f16_e32 v41, v41, v43
	v_add_f16_e32 v43, v46, v47
	v_add_f16_e32 v46, v55, v52
	v_fmamk_f16 v47, v22, 0xbacd, v60
	v_mul_f16_e32 v50, 0x3a62, v59
	v_fmac_f16_e32 v42, 0xbacd, v7
	v_mul_f16_e32 v52, 0x3a62, v61
	v_fma_f16 v55, v22, 0xbacd, -v60
	v_add_f16_e32 v47, v47, v48
	v_fma_f16 v48, v7, 0xb8d2, -v50
	v_add_f16_e32 v42, v42, v49
	v_fmamk_f16 v49, v22, 0xb8d2, v52
	v_add_f16_e32 v51, v55, v51
	v_mul_f16_e32 v55, 0x3964, v59
	v_fmac_f16_e32 v50, 0xb8d2, v7
	v_fma_f16 v52, v22, 0xb8d2, -v52
	v_add_f16_e32 v49, v49, v57
	v_add_f16_e32 v48, v48, v58
	v_fma_f16 v57, v7, 0x39e9, -v55
	v_add_f16_e32 v50, v50, v53
	v_sub_f16_e32 v53, v20, v21
	v_mul_f16_e32 v58, 0x3964, v61
	v_add_f16_e32 v52, v52, v54
	v_add_f16_e32 v54, v57, v56
	;; [unrolled: 1-line block ×3, first 2 shown]
	v_mul_f16_e32 v59, 0xbbb2, v53
	v_sub_f16_e32 v8, v8, v9
	v_fmac_f16_e32 v55, 0x39e9, v7
	v_fma_f16 v7, v22, 0x39e9, -v58
	v_add_f16_e32 v9, v21, v20
	v_fma_f16 v20, v57, 0xb461, -v59
	v_mul_f16_e32 v21, 0xbbb2, v8
	v_fmamk_f16 v56, v22, 0x39e9, v58
	v_add_f16_e32 v7, v7, v24
	v_add_f16_e32 v23, v55, v23
	;; [unrolled: 1-line block ×3, first 2 shown]
	v_fmamk_f16 v24, v9, 0xb461, v21
	v_mul_f16_e32 v29, 0x3836, v53
	v_add_f16_e32 v22, v56, v35
	v_fma_f16 v21, v9, 0xb461, -v21
	v_mul_f16_e32 v35, 0x3836, v8
	v_add_f16_e32 v24, v24, v26
	v_fma_f16 v26, v57, 0xbacd, -v29
	v_mul_f16_e32 v55, 0x3964, v53
	v_add_f16_e32 v21, v21, v27
	v_fmamk_f16 v27, v9, 0xbacd, v35
	v_fmac_f16_e32 v29, 0xbacd, v57
	v_add_f16_e32 v26, v26, v30
	v_fma_f16 v30, v9, 0xbacd, -v35
	v_mul_f16_e32 v35, 0x3964, v8
	v_add_f16_e32 v27, v27, v31
	v_fma_f16 v31, v57, 0x39e9, -v55
	v_add_f16_e32 v25, v29, v25
	v_add_f16_e32 v29, v30, v32
	v_mul_f16_e32 v30, 0xbb29, v53
	v_fmamk_f16 v32, v9, 0x39e9, v35
	v_add_f16_e32 v31, v31, v34
	v_fmac_f16_e32 v55, 0x39e9, v57
	v_fma_f16 v34, v9, 0x39e9, -v35
	v_fma_f16 v35, v57, 0x3722, -v30
	v_mul_f16_e32 v56, 0xbb29, v8
	v_add_f16_e32 v32, v32, v36
	v_add_f16_e32 v28, v55, v28
	;; [unrolled: 1-line block ×4, first 2 shown]
	v_fmamk_f16 v35, v9, 0x3722, v56
	v_mul_f16_e32 v36, 0xb1e1, v53
	v_fmac_f16_e32 v30, 0x3722, v57
	v_fma_f16 v38, v9, 0x3722, -v56
	v_mul_f16_e32 v55, 0xb1e1, v8
	v_add_f16_e32 v35, v35, v39
	v_fma_f16 v39, v57, 0xbbdd, -v36
	v_add_f16_e32 v30, v30, v37
	v_add_f16_e32 v37, v38, v40
	v_fmamk_f16 v38, v9, 0xbbdd, v55
	v_mul_f16_e32 v40, 0x3bf7, v53
	v_add_f16_e32 v39, v39, v44
	v_fmac_f16_e32 v36, 0xbbdd, v57
	v_fma_f16 v44, v9, 0xbbdd, -v55
	v_add_f16_e32 v38, v38, v45
	v_fma_f16 v45, v57, 0x2de8, -v40
	v_mul_f16_e32 v55, 0x3bf7, v8
	v_add_f16_e32 v36, v36, v41
	v_add_f16_e32 v41, v44, v43
	v_mul_f16_e32 v43, 0xb5c8, v53
	v_add_f16_e32 v44, v45, v46
	v_fmac_f16_e32 v40, 0x2de8, v57
	v_fma_f16 v46, v9, 0x2de8, -v55
	v_mul_f16_e32 v56, 0xb5c8, v8
	v_fmamk_f16 v45, v9, 0x2de8, v55
	v_fma_f16 v55, v57, 0x3b76, -v43
	v_add_f16_e32 v40, v40, v42
	v_add_f16_e32 v42, v46, v51
	v_fmac_f16_e32 v43, 0x3b76, v57
	v_fma_f16 v51, v9, 0x3b76, -v56
	v_add_f16_e32 v45, v45, v47
	v_add_f16_e32 v46, v55, v48
	v_fmamk_f16 v47, v9, 0x3b76, v56
	v_mul_f16_e32 v48, 0xba62, v53
	v_mul_f16_e32 v8, 0xba62, v8
	v_add_f16_e32 v43, v43, v50
	v_add_f16_e32 v50, v51, v52
	v_sub_f16_e32 v51, v18, v19
	v_add_f16_e32 v52, v6, v3
	v_sub_f16_e32 v3, v3, v6
	v_add_f16_e32 v47, v47, v49
	v_fma_f16 v49, v57, 0xb8d2, -v48
	v_fmamk_f16 v53, v9, 0xb8d2, v8
	v_mul_f16_e32 v6, 0xba62, v51
	v_fmac_f16_e32 v48, 0xb8d2, v57
	v_fma_f16 v8, v9, 0xb8d2, -v8
	v_add_f16_e32 v9, v19, v18
	v_mul_f16_e32 v18, 0xba62, v3
	v_fmac_f16_e32 v59, 0xb461, v57
	v_fma_f16 v19, v52, 0xb8d2, -v6
	v_add_f16_e32 v23, v48, v23
	v_add_f16_e32 v7, v8, v7
	v_mul_f16_e32 v8, 0x3bb2, v51
	v_fmamk_f16 v48, v9, 0xb8d2, v18
	v_add_f16_e32 v10, v59, v10
	v_add_f16_e32 v19, v19, v20
	v_fmac_f16_e32 v6, 0xb8d2, v52
	v_fma_f16 v18, v9, 0xb8d2, -v18
	v_fma_f16 v20, v52, 0xb461, -v8
	v_add_f16_e32 v24, v48, v24
	v_mul_f16_e32 v48, 0x3bb2, v3
	v_add_f16_e32 v6, v6, v10
	v_add_f16_e32 v10, v18, v21
	;; [unrolled: 1-line block ×3, first 2 shown]
	v_mul_f16_e32 v20, 0xb5c8, v51
	v_fmamk_f16 v21, v9, 0xb461, v48
	v_fmac_f16_e32 v8, 0xb461, v52
	v_fma_f16 v26, v9, 0xb461, -v48
	v_mul_f16_e32 v48, 0xb5c8, v3
	v_add_f16_e32 v22, v53, v22
	v_fma_f16 v53, v52, 0x3b76, -v20
	v_add_f16_e32 v8, v8, v25
	v_add_f16_e32 v25, v26, v29
	v_fmamk_f16 v26, v9, 0x3b76, v48
	v_add_f16_e32 v21, v21, v27
	v_add_f16_e32 v27, v53, v31
	v_mul_f16_e32 v29, 0xb836, v51
	v_fmac_f16_e32 v20, 0x3b76, v52
	v_fma_f16 v31, v9, 0x3b76, -v48
	v_add_f16_e32 v26, v26, v32
	v_mul_f16_e32 v32, 0xb836, v3
	v_fma_f16 v48, v52, 0xbacd, -v29
	v_add_f16_e32 v20, v20, v28
	v_add_f16_e32 v28, v31, v33
	v_mul_f16_e32 v31, 0x3bf7, v51
	v_fmamk_f16 v33, v9, 0xbacd, v32
	v_fmac_f16_e32 v29, 0xbacd, v52
	v_fma_f16 v32, v9, 0xbacd, -v32
	v_add_f16_e32 v34, v48, v34
	v_fma_f16 v48, v52, 0x2de8, -v31
	v_add_f16_e32 v33, v33, v35
	v_mul_f16_e32 v35, 0x3bf7, v3
	v_add_f16_e32 v29, v29, v30
	v_add_f16_e32 v30, v32, v37
	v_mul_f16_e32 v37, 0xb964, v51
	v_add_f16_e32 v32, v48, v39
	v_fmamk_f16 v39, v9, 0x2de8, v35
	v_fmac_f16_e32 v31, 0x2de8, v52
	v_fma_f16 v35, v9, 0x2de8, -v35
	v_mul_f16_e32 v48, 0xb964, v3
	v_fma_f16 v53, v52, 0x39e9, -v37
	v_add_f16_e32 v38, v39, v38
	v_add_f16_e32 v31, v31, v36
	;; [unrolled: 1-line block ×3, first 2 shown]
	v_fmamk_f16 v36, v9, 0x39e9, v48
	v_add_f16_e32 v39, v53, v44
	v_mul_f16_e32 v41, 0xb1e1, v51
	v_fmac_f16_e32 v37, 0x39e9, v52
	v_fma_f16 v44, v9, 0x39e9, -v48
	v_add_f16_e32 v36, v36, v45
	v_mul_f16_e32 v45, 0xb1e1, v3
	v_fma_f16 v48, v52, 0xbbdd, -v41
	v_add_f16_e32 v37, v37, v40
	v_add_f16_e32 v40, v44, v42
	v_mul_f16_e32 v42, 0x3b29, v51
	v_add_f16_e32 v49, v49, v54
	v_fmamk_f16 v44, v9, 0xbbdd, v45
	v_add_f16_e32 v46, v48, v46
	v_fmac_f16_e32 v41, 0xbbdd, v52
	v_fma_f16 v45, v9, 0xbbdd, -v45
	v_fma_f16 v48, v52, 0x3722, -v42
	v_add_f16_e32 v44, v44, v47
	v_mul_f16_e32 v3, 0x3b29, v3
	v_add_f16_e32 v41, v41, v43
	v_add_f16_e32 v43, v45, v50
	;; [unrolled: 1-line block ×3, first 2 shown]
	v_sub_f16_e32 v47, v16, v17
	v_sub_f16_e32 v49, v4, v5
	v_fmamk_f16 v48, v9, 0x3722, v3
	v_fmac_f16_e32 v42, 0x3722, v52
	v_add_f16_e32 v4, v5, v4
	v_mul_f16_e32 v5, 0xb836, v47
	v_fma_f16 v3, v9, 0x3722, -v3
	v_add_f16_e32 v9, v17, v16
	v_mul_f16_e32 v16, 0xb836, v49
	v_add_f16_e32 v17, v48, v22
	v_fma_f16 v22, v4, 0xbacd, -v5
	v_add_f16_e32 v23, v42, v23
	v_add_f16_e32 v3, v3, v7
	v_fmamk_f16 v7, v9, 0xbacd, v16
	v_mul_f16_e32 v42, 0x3b29, v47
	v_fmac_f16_e32 v5, 0xbacd, v4
	v_fma_f16 v16, v9, 0xbacd, -v16
	v_add_f16_e32 v19, v22, v19
	v_add_f16_e32 v7, v7, v24
	v_fma_f16 v22, v4, 0x3722, -v42
	v_mul_f16_e32 v24, 0x3b29, v49
	v_add_f16_e32 v5, v5, v6
	v_add_f16_e32 v6, v16, v10
	v_mul_f16_e32 v10, 0xbbf7, v47
	v_add_f16_e32 v16, v22, v18
	v_fmamk_f16 v18, v9, 0x3722, v24
	v_fma_f16 v22, v9, 0x3722, -v24
	v_mul_f16_e32 v48, 0xbbf7, v49
	v_fma_f16 v24, v4, 0x2de8, -v10
	v_fmac_f16_e32 v42, 0x3722, v4
	v_add_f16_e32 v18, v18, v21
	v_add_f16_e32 v21, v22, v25
	v_mul_f16_e32 v25, 0x3a62, v47
	v_add_f16_e32 v22, v24, v27
	v_fmamk_f16 v24, v9, 0x2de8, v48
	v_add_f16_e32 v8, v42, v8
	v_fmac_f16_e32 v10, 0x2de8, v4
	v_fma_f16 v27, v9, 0x2de8, -v48
	v_mul_f16_e32 v42, 0x3a62, v49
	v_add_f16_e32 v24, v24, v26
	v_fma_f16 v26, v4, 0xb8d2, -v25
	v_add_f16_e32 v10, v10, v20
	v_add_f16_e32 v20, v27, v28
	v_fmamk_f16 v27, v9, 0xb8d2, v42
	v_mul_f16_e32 v28, 0xb5c8, v47
	v_add_f16_e32 v26, v26, v34
	v_fmac_f16_e32 v25, 0xb8d2, v4
	v_fma_f16 v34, v9, 0xb8d2, -v42
	v_add_f16_e32 v27, v27, v33
	v_fma_f16 v33, v4, 0x3b76, -v28
	v_mul_f16_e32 v42, 0xb5c8, v49
	v_add_f16_e32 v25, v25, v29
	v_add_f16_e32 v29, v34, v30
	v_mul_f16_e32 v30, 0xb1e1, v47
	v_add_f16_e32 v32, v33, v32
	v_fmamk_f16 v33, v9, 0x3b76, v42
	v_fmac_f16_e32 v28, 0x3b76, v4
	v_fma_f16 v34, v9, 0x3b76, -v42
	v_fma_f16 v42, v4, 0xbbdd, -v30
	v_mul_f16_e32 v48, 0xb1e1, v49
	v_fmac_f16_e32 v30, 0xbbdd, v4
	v_add_f16_e32 v28, v28, v31
	v_add_f16_e32 v31, v34, v35
	;; [unrolled: 1-line block ×3, first 2 shown]
	v_fma_f16 v39, v9, 0xbbdd, -v48
	v_mul_f16_e32 v42, 0x3964, v49
	v_add_f16_e32 v33, v33, v38
	v_fmamk_f16 v35, v9, 0xbbdd, v48
	v_mul_f16_e32 v38, 0x3964, v47
	v_add_f16_e32 v30, v30, v37
	v_add_f16_e32 v37, v39, v40
	v_fmamk_f16 v39, v9, 0x39e9, v42
	v_mul_f16_e32 v40, 0xbbb2, v47
	v_add_f16_e32 v35, v35, v36
	v_fma_f16 v36, v4, 0x39e9, -v38
	v_fmac_f16_e32 v38, 0x39e9, v4
	v_fma_f16 v42, v9, 0x39e9, -v42
	v_add_f16_e32 v39, v39, v44
	v_fma_f16 v44, v4, 0xb461, -v40
	v_add_f16_e32 v36, v36, v46
	v_mul_f16_e32 v46, 0xbbb2, v49
	v_add_f16_e32 v38, v38, v41
	v_add_f16_e32 v41, v42, v43
	v_sub_f16_e32 v42, v14, v15
	v_add_f16_e32 v43, v44, v45
	v_add_f16_e32 v45, v1, v0
	v_sub_f16_e32 v0, v0, v1
	v_fmamk_f16 v44, v9, 0xb461, v46
	v_mul_f16_e32 v1, 0xb1e1, v42
	v_fmac_f16_e32 v40, 0xb461, v4
	v_fma_f16 v4, v9, 0xb461, -v46
	v_add_f16_e32 v9, v15, v14
	v_mul_f16_e32 v14, 0xb1e1, v0
	v_fma_f16 v15, v45, 0xbbdd, -v1
	v_add_f16_e32 v23, v40, v23
	v_add_f16_e32 v40, v4, v3
	v_fmac_f16_e32 v1, 0xbbdd, v45
	v_fmamk_f16 v3, v9, 0xbbdd, v14
	v_add_f16_e32 v15, v15, v19
	v_add_f16_e32 v17, v44, v17
	v_mul_f16_e32 v4, 0x35c8, v42
	v_fma_f16 v14, v9, 0xbbdd, -v14
	v_add_f16_e32 v19, v3, v7
	v_mul_f16_e32 v3, 0x35c8, v0
	v_add_f16_e32 v44, v1, v5
	v_mul_f16_e32 v1, 0xb836, v42
	v_fma_f16 v7, v45, 0x3b76, -v4
	v_add_f16_e32 v14, v14, v6
	v_fmamk_f16 v5, v9, 0x3b76, v3
	v_fmac_f16_e32 v4, 0x3b76, v45
	v_fma_f16 v3, v9, 0x3b76, -v3
	v_fma_f16 v6, v45, 0xbacd, -v1
	v_fmac_f16_e32 v1, 0xbacd, v45
	v_add_f16_e32 v18, v5, v18
	v_mul_f16_e32 v5, 0xb836, v0
	v_add_f16_e32 v46, v4, v8
	v_add_f16_e32 v21, v3, v21
	;; [unrolled: 1-line block ×3, first 2 shown]
	v_mul_f16_e32 v3, 0x3964, v42
	v_fmamk_f16 v4, v9, 0xbacd, v5
	v_mul_f16_e32 v6, 0x3964, v0
	v_add_f16_e32 v16, v7, v16
	v_add_f16_e32 v47, v1, v10
	v_fma_f16 v7, v45, 0x39e9, -v3
	v_add_f16_e32 v24, v4, v24
	v_fmamk_f16 v1, v9, 0x39e9, v6
	v_fmac_f16_e32 v3, 0x39e9, v45
	v_mul_f16_e32 v4, 0xba62, v42
	v_fma_f16 v5, v9, 0xbacd, -v5
	v_add_f16_e32 v26, v7, v26
	v_add_f16_e32 v27, v1, v27
	v_mul_f16_e32 v1, 0xba62, v0
	v_add_f16_e32 v25, v3, v25
	v_fma_f16 v3, v45, 0xb8d2, -v4
	v_fmac_f16_e32 v4, 0xb8d2, v45
	v_add_f16_e32 v20, v5, v20
	v_fma_f16 v5, v9, 0x39e9, -v6
	v_fmamk_f16 v6, v9, 0xb8d2, v1
	v_fma_f16 v1, v9, 0xb8d2, -v1
	v_add_f16_e32 v28, v4, v28
	v_mul_f16_e32 v4, 0x3b29, v0
	v_add_f16_e32 v29, v5, v29
	v_mul_f16_e32 v5, 0x3b29, v42
	v_add_f16_e32 v33, v6, v33
	v_add_f16_e32 v32, v3, v32
	v_fmamk_f16 v6, v9, 0x3722, v4
	v_fma_f16 v4, v9, 0x3722, -v4
	v_fma_f16 v3, v45, 0x3722, -v5
	v_add_f16_e32 v31, v1, v31
	v_mul_f16_e32 v1, 0xbbb2, v42
	v_add_f16_e32 v35, v6, v35
	v_add_f16_e32 v37, v4, v37
	v_add_co_u32 v4, s7, s7, v12
	v_add_f16_e32 v34, v3, v34
	v_mul_f16_e32 v3, 0xbbb2, v0
	v_fma_f16 v7, v45, 0xb461, -v1
	s_wait_alu 0xf1ff
	v_add_co_ci_u32_e64 v6, null, 0, 0, s7
	v_fmac_f16_e32 v1, 0xb461, v45
	v_fmamk_f16 v8, v9, 0xb461, v3
	v_add_f16_e32 v36, v7, v36
	v_fma_f16 v7, v9, 0xb461, -v3
	v_mul_lo_u32 v6, v6, s4
	v_mul_lo_u32 v12, v4, s5
	v_mad_co_u64_u32 v[3:4], null, v4, s4, 0
	v_fmac_f16_e32 v5, 0x3722, v45
	v_add_f16_e32 v38, v1, v38
	v_mul_u32_u24_e32 v1, 17, v11
	v_mul_f16_e32 v0, 0x3bf7, v0
	v_add_f16_e32 v39, v8, v39
	v_add_f16_e32 v30, v5, v30
	v_mul_f16_e32 v5, 0x3bf7, v42
	v_add3_u32 v4, v4, v12, v6
	v_mul_lo_u32 v1, v1, s6
	v_fmamk_f16 v10, v9, 0x2de8, v0
	v_fma_f16 v0, v9, 0x2de8, -v0
	v_fma_f16 v8, v45, 0x2de8, -v5
	v_fmac_f16_e32 v5, 0x2de8, v45
	v_lshlrev_b64_e32 v[3:4], 2, v[3:4]
	v_add_f16_e32 v41, v7, v41
	v_add_f16_e32 v0, v0, v40
	;; [unrolled: 1-line block ×4, first 2 shown]
	v_lshlrev_b64_e32 v[5:6], 2, v[1:2]
	v_add_nc_u32_e32 v1, s6, v1
	v_add_co_u32 v40, vcc_lo, s0, v3
	s_wait_alu 0xfffd
	v_add_co_ci_u32_e32 v43, vcc_lo, s1, v4, vcc_lo
	s_delay_alu instid0(VALU_DEP_3) | instskip(SKIP_4) | instid1(VALU_DEP_3)
	v_lshlrev_b64_e32 v[3:4], 2, v[1:2]
	v_add_nc_u32_e32 v1, s6, v1
	v_add_co_u32 v5, vcc_lo, v40, v5
	s_wait_alu 0xfffd
	v_add_co_ci_u32_e32 v6, vcc_lo, v43, v6, vcc_lo
	v_lshlrev_b64_e32 v[7:8], 2, v[1:2]
	v_add_nc_u32_e32 v1, s6, v1
	v_add_f16_e32 v17, v10, v17
	v_add_co_u32 v3, vcc_lo, v40, v3
	s_wait_alu 0xfffd
	v_add_co_ci_u32_e32 v4, vcc_lo, v43, v4, vcc_lo
	v_lshlrev_b64_e32 v[9:10], 2, v[1:2]
	v_add_nc_u32_e32 v1, s6, v1
	v_add_co_u32 v7, vcc_lo, v40, v7
	s_wait_alu 0xfffd
	v_add_co_ci_u32_e32 v8, vcc_lo, v43, v8, vcc_lo
	s_delay_alu instid0(VALU_DEP_3)
	v_lshlrev_b64_e32 v[11:12], 2, v[1:2]
	v_add_nc_u32_e32 v1, s6, v1
	v_pack_b32_f16 v15, v15, v19
	v_add_co_u32 v9, vcc_lo, v40, v9
	v_pack_b32_f16 v16, v16, v18
	s_wait_alu 0xfffd
	v_add_co_ci_u32_e32 v10, vcc_lo, v43, v10, vcc_lo
	v_pack_b32_f16 v18, v22, v24
	s_clause 0x3
	global_store_b32 v[5:6], v13, off
	global_store_b32 v[3:4], v15, off
	;; [unrolled: 1-line block ×4, first 2 shown]
	v_lshlrev_b64_e32 v[3:4], 2, v[1:2]
	v_add_nc_u32_e32 v1, s6, v1
	v_add_co_u32 v5, vcc_lo, v40, v11
	s_wait_alu 0xfffd
	v_add_co_ci_u32_e32 v6, vcc_lo, v43, v12, vcc_lo
	s_delay_alu instid0(VALU_DEP_3) | instskip(SKIP_4) | instid1(VALU_DEP_3)
	v_lshlrev_b64_e32 v[7:8], 2, v[1:2]
	v_add_nc_u32_e32 v1, s6, v1
	v_add_co_u32 v3, vcc_lo, v40, v3
	s_wait_alu 0xfffd
	v_add_co_ci_u32_e32 v4, vcc_lo, v43, v4, vcc_lo
	v_lshlrev_b64_e32 v[9:10], 2, v[1:2]
	v_add_nc_u32_e32 v1, s6, v1
	v_add_co_u32 v7, vcc_lo, v40, v7
	v_pack_b32_f16 v13, v26, v27
	s_wait_alu 0xfffd
	v_add_co_ci_u32_e32 v8, vcc_lo, v43, v8, vcc_lo
	v_lshlrev_b64_e32 v[11:12], 2, v[1:2]
	v_add_nc_u32_e32 v1, s6, v1
	v_pack_b32_f16 v15, v32, v33
	v_add_co_u32 v9, vcc_lo, v40, v9
	v_pack_b32_f16 v16, v34, v35
	s_wait_alu 0xfffd
	v_add_co_ci_u32_e32 v10, vcc_lo, v43, v10, vcc_lo
	v_pack_b32_f16 v18, v36, v39
	s_clause 0x3
	global_store_b32 v[5:6], v13, off
	global_store_b32 v[3:4], v15, off
	;; [unrolled: 1-line block ×4, first 2 shown]
	v_lshlrev_b64_e32 v[3:4], 2, v[1:2]
	v_add_nc_u32_e32 v1, s6, v1
	v_add_co_u32 v5, vcc_lo, v40, v11
	s_wait_alu 0xfffd
	v_add_co_ci_u32_e32 v6, vcc_lo, v43, v12, vcc_lo
	s_delay_alu instid0(VALU_DEP_3) | instskip(SKIP_4) | instid1(VALU_DEP_3)
	v_lshlrev_b64_e32 v[7:8], 2, v[1:2]
	v_add_nc_u32_e32 v1, s6, v1
	v_add_co_u32 v3, vcc_lo, v40, v3
	s_wait_alu 0xfffd
	v_add_co_ci_u32_e32 v4, vcc_lo, v43, v4, vcc_lo
	v_lshlrev_b64_e32 v[9:10], 2, v[1:2]
	v_add_nc_u32_e32 v1, s6, v1
	v_add_co_u32 v7, vcc_lo, v40, v7
	v_pack_b32_f16 v13, v42, v17
	s_wait_alu 0xfffd
	v_add_co_ci_u32_e32 v8, vcc_lo, v43, v8, vcc_lo
	v_lshlrev_b64_e32 v[11:12], 2, v[1:2]
	v_add_nc_u32_e32 v1, s6, v1
	v_pack_b32_f16 v0, v23, v0
	v_add_co_u32 v9, vcc_lo, v40, v9
	v_pack_b32_f16 v15, v38, v41
	s_wait_alu 0xfffd
	v_add_co_ci_u32_e32 v10, vcc_lo, v43, v10, vcc_lo
	v_pack_b32_f16 v16, v30, v37
	s_clause 0x3
	global_store_b32 v[5:6], v13, off
	global_store_b32 v[3:4], v0, off
	;; [unrolled: 1-line block ×4, first 2 shown]
	v_lshlrev_b64_e32 v[3:4], 2, v[1:2]
	v_add_nc_u32_e32 v1, s6, v1
	v_add_co_u32 v5, vcc_lo, v40, v11
	s_wait_alu 0xfffd
	v_add_co_ci_u32_e32 v6, vcc_lo, v43, v12, vcc_lo
	s_delay_alu instid0(VALU_DEP_3) | instskip(SKIP_4) | instid1(VALU_DEP_3)
	v_lshlrev_b64_e32 v[7:8], 2, v[1:2]
	v_add_nc_u32_e32 v1, s6, v1
	v_add_co_u32 v3, vcc_lo, v40, v3
	s_wait_alu 0xfffd
	v_add_co_ci_u32_e32 v4, vcc_lo, v43, v4, vcc_lo
	v_lshlrev_b64_e32 v[9:10], 2, v[1:2]
	v_add_nc_u32_e32 v1, s6, v1
	v_add_co_u32 v7, vcc_lo, v40, v7
	s_wait_alu 0xfffd
	v_add_co_ci_u32_e32 v8, vcc_lo, v43, v8, vcc_lo
	s_delay_alu instid0(VALU_DEP_3)
	v_lshlrev_b64_e32 v[0:1], 2, v[1:2]
	v_add_co_u32 v9, vcc_lo, v40, v9
	v_pack_b32_f16 v11, v28, v31
	v_pack_b32_f16 v12, v25, v29
	s_wait_alu 0xfffd
	v_add_co_ci_u32_e32 v10, vcc_lo, v43, v10, vcc_lo
	v_pack_b32_f16 v13, v47, v20
	v_add_co_u32 v0, vcc_lo, v40, v0
	v_pack_b32_f16 v2, v46, v21
	s_wait_alu 0xfffd
	v_add_co_ci_u32_e32 v1, vcc_lo, v43, v1, vcc_lo
	v_pack_b32_f16 v14, v44, v14
	s_clause 0x4
	global_store_b32 v[5:6], v11, off
	global_store_b32 v[3:4], v12, off
	;; [unrolled: 1-line block ×5, first 2 shown]
	s_nop 0
	s_sendmsg sendmsg(MSG_DEALLOC_VGPRS)
	s_endpgm
	.section	.rodata,"a",@progbits
	.p2align	6, 0x0
	.amdhsa_kernel fft_rtc_fwd_len17_factors_17_wgs_120_tpt_1_half_op_CI_CI_sbrc_xy_z_aligned_dirReg
		.amdhsa_group_segment_fixed_size 0
		.amdhsa_private_segment_fixed_size 0
		.amdhsa_kernarg_size 104
		.amdhsa_user_sgpr_count 2
		.amdhsa_user_sgpr_dispatch_ptr 0
		.amdhsa_user_sgpr_queue_ptr 0
		.amdhsa_user_sgpr_kernarg_segment_ptr 1
		.amdhsa_user_sgpr_dispatch_id 0
		.amdhsa_user_sgpr_private_segment_size 0
		.amdhsa_wavefront_size32 1
		.amdhsa_uses_dynamic_stack 0
		.amdhsa_enable_private_segment 0
		.amdhsa_system_sgpr_workgroup_id_x 1
		.amdhsa_system_sgpr_workgroup_id_y 0
		.amdhsa_system_sgpr_workgroup_id_z 0
		.amdhsa_system_sgpr_workgroup_info 0
		.amdhsa_system_vgpr_workitem_id 0
		.amdhsa_next_free_vgpr 71
		.amdhsa_next_free_sgpr 30
		.amdhsa_reserve_vcc 1
		.amdhsa_float_round_mode_32 0
		.amdhsa_float_round_mode_16_64 0
		.amdhsa_float_denorm_mode_32 3
		.amdhsa_float_denorm_mode_16_64 3
		.amdhsa_fp16_overflow 0
		.amdhsa_workgroup_processor_mode 1
		.amdhsa_memory_ordered 1
		.amdhsa_forward_progress 0
		.amdhsa_round_robin_scheduling 0
		.amdhsa_exception_fp_ieee_invalid_op 0
		.amdhsa_exception_fp_denorm_src 0
		.amdhsa_exception_fp_ieee_div_zero 0
		.amdhsa_exception_fp_ieee_overflow 0
		.amdhsa_exception_fp_ieee_underflow 0
		.amdhsa_exception_fp_ieee_inexact 0
		.amdhsa_exception_int_div_zero 0
	.end_amdhsa_kernel
	.text
.Lfunc_end0:
	.size	fft_rtc_fwd_len17_factors_17_wgs_120_tpt_1_half_op_CI_CI_sbrc_xy_z_aligned_dirReg, .Lfunc_end0-fft_rtc_fwd_len17_factors_17_wgs_120_tpt_1_half_op_CI_CI_sbrc_xy_z_aligned_dirReg
                                        ; -- End function
	.section	.AMDGPU.csdata,"",@progbits
; Kernel info:
; codeLenInByte = 9940
; NumSgprs: 32
; NumVgprs: 71
; ScratchSize: 0
; MemoryBound: 0
; FloatMode: 240
; IeeeMode: 1
; LDSByteSize: 0 bytes/workgroup (compile time only)
; SGPRBlocks: 3
; VGPRBlocks: 8
; NumSGPRsForWavesPerEU: 32
; NumVGPRsForWavesPerEU: 71
; Occupancy: 16
; WaveLimiterHint : 1
; COMPUTE_PGM_RSRC2:SCRATCH_EN: 0
; COMPUTE_PGM_RSRC2:USER_SGPR: 2
; COMPUTE_PGM_RSRC2:TRAP_HANDLER: 0
; COMPUTE_PGM_RSRC2:TGID_X_EN: 1
; COMPUTE_PGM_RSRC2:TGID_Y_EN: 0
; COMPUTE_PGM_RSRC2:TGID_Z_EN: 0
; COMPUTE_PGM_RSRC2:TIDIG_COMP_CNT: 0
	.text
	.p2alignl 7, 3214868480
	.fill 96, 4, 3214868480
	.type	__hip_cuid_7eb7babd9f956db3,@object ; @__hip_cuid_7eb7babd9f956db3
	.section	.bss,"aw",@nobits
	.globl	__hip_cuid_7eb7babd9f956db3
__hip_cuid_7eb7babd9f956db3:
	.byte	0                               ; 0x0
	.size	__hip_cuid_7eb7babd9f956db3, 1

	.ident	"AMD clang version 19.0.0git (https://github.com/RadeonOpenCompute/llvm-project roc-6.4.0 25133 c7fe45cf4b819c5991fe208aaa96edf142730f1d)"
	.section	".note.GNU-stack","",@progbits
	.addrsig
	.addrsig_sym __hip_cuid_7eb7babd9f956db3
	.amdgpu_metadata
---
amdhsa.kernels:
  - .args:
      - .actual_access:  read_only
        .address_space:  global
        .offset:         0
        .size:           8
        .value_kind:     global_buffer
      - .offset:         8
        .size:           8
        .value_kind:     by_value
      - .actual_access:  read_only
        .address_space:  global
        .offset:         16
        .size:           8
        .value_kind:     global_buffer
      - .actual_access:  read_only
        .address_space:  global
        .offset:         24
        .size:           8
        .value_kind:     global_buffer
      - .actual_access:  read_only
        .address_space:  global
        .offset:         32
        .size:           8
        .value_kind:     global_buffer
      - .offset:         40
        .size:           8
        .value_kind:     by_value
      - .actual_access:  read_only
        .address_space:  global
        .offset:         48
        .size:           8
        .value_kind:     global_buffer
      - .actual_access:  read_only
        .address_space:  global
        .offset:         56
        .size:           8
        .value_kind:     global_buffer
      - .offset:         64
        .size:           4
        .value_kind:     by_value
      - .actual_access:  read_only
        .address_space:  global
        .offset:         72
        .size:           8
        .value_kind:     global_buffer
      - .actual_access:  read_only
        .address_space:  global
        .offset:         80
        .size:           8
        .value_kind:     global_buffer
      - .actual_access:  read_only
        .address_space:  global
        .offset:         88
        .size:           8
        .value_kind:     global_buffer
      - .actual_access:  write_only
        .address_space:  global
        .offset:         96
        .size:           8
        .value_kind:     global_buffer
    .group_segment_fixed_size: 0
    .kernarg_segment_align: 8
    .kernarg_segment_size: 104
    .language:       OpenCL C
    .language_version:
      - 2
      - 0
    .max_flat_workgroup_size: 120
    .name:           fft_rtc_fwd_len17_factors_17_wgs_120_tpt_1_half_op_CI_CI_sbrc_xy_z_aligned_dirReg
    .private_segment_fixed_size: 0
    .sgpr_count:     32
    .sgpr_spill_count: 0
    .symbol:         fft_rtc_fwd_len17_factors_17_wgs_120_tpt_1_half_op_CI_CI_sbrc_xy_z_aligned_dirReg.kd
    .uniform_work_group_size: 1
    .uses_dynamic_stack: false
    .vgpr_count:     71
    .vgpr_spill_count: 0
    .wavefront_size: 32
    .workgroup_processor_mode: 1
amdhsa.target:   amdgcn-amd-amdhsa--gfx1201
amdhsa.version:
  - 1
  - 2
...

	.end_amdgpu_metadata
